;; amdgpu-corpus repo=ROCm/rocFFT kind=compiled arch=gfx1030 opt=O3
	.text
	.amdgcn_target "amdgcn-amd-amdhsa--gfx1030"
	.amdhsa_code_object_version 6
	.protected	fft_rtc_back_len288_factors_6_6_4_2_wgs_120_tpt_24_halfLds_half_ip_CI_unitstride_sbrr_R2C_dirReg ; -- Begin function fft_rtc_back_len288_factors_6_6_4_2_wgs_120_tpt_24_halfLds_half_ip_CI_unitstride_sbrr_R2C_dirReg
	.globl	fft_rtc_back_len288_factors_6_6_4_2_wgs_120_tpt_24_halfLds_half_ip_CI_unitstride_sbrr_R2C_dirReg
	.p2align	8
	.type	fft_rtc_back_len288_factors_6_6_4_2_wgs_120_tpt_24_halfLds_half_ip_CI_unitstride_sbrr_R2C_dirReg,@function
fft_rtc_back_len288_factors_6_6_4_2_wgs_120_tpt_24_halfLds_half_ip_CI_unitstride_sbrr_R2C_dirReg: ; @fft_rtc_back_len288_factors_6_6_4_2_wgs_120_tpt_24_halfLds_half_ip_CI_unitstride_sbrr_R2C_dirReg
; %bb.0:
	s_load_dwordx4 s[8:11], s[4:5], 0x0
	v_mul_u32_u24_e32 v1, 0xaab, v0
	s_clause 0x1
	s_load_dwordx2 s[2:3], s[4:5], 0x50
	s_load_dwordx2 s[12:13], s[4:5], 0x18
	v_mov_b32_e32 v5, 0
	v_mov_b32_e32 v3, 0
	;; [unrolled: 1-line block ×3, first 2 shown]
	v_lshrrev_b32_e32 v1, 16, v1
	v_mad_u64_u32 v[1:2], null, s6, 5, v[1:2]
	v_mov_b32_e32 v2, v5
	v_mov_b32_e32 v14, v2
	;; [unrolled: 1-line block ×3, first 2 shown]
	s_waitcnt lgkmcnt(0)
	v_cmp_lt_u64_e64 s0, s[10:11], 2
	s_and_b32 vcc_lo, exec_lo, s0
	s_cbranch_vccnz .LBB0_8
; %bb.1:
	s_load_dwordx2 s[0:1], s[4:5], 0x10
	v_mov_b32_e32 v3, 0
	v_mov_b32_e32 v8, v2
	s_add_u32 s6, s12, 8
	v_mov_b32_e32 v4, 0
	v_mov_b32_e32 v7, v1
	s_addc_u32 s7, s13, 0
	s_mov_b64 s[16:17], 1
	s_waitcnt lgkmcnt(0)
	s_add_u32 s14, s0, 8
	s_addc_u32 s15, s1, 0
.LBB0_2:                                ; =>This Inner Loop Header: Depth=1
	s_load_dwordx2 s[18:19], s[14:15], 0x0
                                        ; implicit-def: $vgpr13_vgpr14
	s_mov_b32 s0, exec_lo
	s_waitcnt lgkmcnt(0)
	v_or_b32_e32 v6, s19, v8
	v_cmpx_ne_u64_e32 0, v[5:6]
	s_xor_b32 s1, exec_lo, s0
	s_cbranch_execz .LBB0_4
; %bb.3:                                ;   in Loop: Header=BB0_2 Depth=1
	v_cvt_f32_u32_e32 v2, s18
	v_cvt_f32_u32_e32 v6, s19
	s_sub_u32 s0, 0, s18
	s_subb_u32 s20, 0, s19
	v_fmac_f32_e32 v2, 0x4f800000, v6
	v_rcp_f32_e32 v2, v2
	v_mul_f32_e32 v2, 0x5f7ffffc, v2
	v_mul_f32_e32 v6, 0x2f800000, v2
	v_trunc_f32_e32 v6, v6
	v_fmac_f32_e32 v2, 0xcf800000, v6
	v_cvt_u32_f32_e32 v6, v6
	v_cvt_u32_f32_e32 v2, v2
	v_mul_lo_u32 v9, s0, v6
	v_mul_hi_u32 v10, s0, v2
	v_mul_lo_u32 v11, s20, v2
	v_add_nc_u32_e32 v9, v10, v9
	v_mul_lo_u32 v10, s0, v2
	v_add_nc_u32_e32 v9, v9, v11
	v_mul_hi_u32 v11, v2, v10
	v_mul_lo_u32 v12, v2, v9
	v_mul_hi_u32 v13, v2, v9
	v_mul_hi_u32 v14, v6, v10
	v_mul_lo_u32 v10, v6, v10
	v_mul_hi_u32 v15, v6, v9
	v_mul_lo_u32 v9, v6, v9
	v_add_co_u32 v11, vcc_lo, v11, v12
	v_add_co_ci_u32_e32 v12, vcc_lo, 0, v13, vcc_lo
	v_add_co_u32 v10, vcc_lo, v11, v10
	v_add_co_ci_u32_e32 v10, vcc_lo, v12, v14, vcc_lo
	v_add_co_ci_u32_e32 v11, vcc_lo, 0, v15, vcc_lo
	v_add_co_u32 v9, vcc_lo, v10, v9
	v_add_co_ci_u32_e32 v10, vcc_lo, 0, v11, vcc_lo
	v_add_co_u32 v2, vcc_lo, v2, v9
	v_add_co_ci_u32_e32 v6, vcc_lo, v6, v10, vcc_lo
	v_mul_hi_u32 v9, s0, v2
	v_mul_lo_u32 v11, s20, v2
	v_mul_lo_u32 v10, s0, v6
	v_add_nc_u32_e32 v9, v9, v10
	v_mul_lo_u32 v10, s0, v2
	v_add_nc_u32_e32 v9, v9, v11
	v_mul_hi_u32 v11, v2, v10
	v_mul_lo_u32 v12, v2, v9
	v_mul_hi_u32 v13, v2, v9
	v_mul_hi_u32 v14, v6, v10
	v_mul_lo_u32 v10, v6, v10
	v_mul_hi_u32 v15, v6, v9
	v_mul_lo_u32 v9, v6, v9
	v_add_co_u32 v11, vcc_lo, v11, v12
	v_add_co_ci_u32_e32 v12, vcc_lo, 0, v13, vcc_lo
	v_add_co_u32 v10, vcc_lo, v11, v10
	v_add_co_ci_u32_e32 v10, vcc_lo, v12, v14, vcc_lo
	v_add_co_ci_u32_e32 v11, vcc_lo, 0, v15, vcc_lo
	v_add_co_u32 v9, vcc_lo, v10, v9
	v_add_co_ci_u32_e32 v10, vcc_lo, 0, v11, vcc_lo
	v_add_co_u32 v2, vcc_lo, v2, v9
	v_add_co_ci_u32_e32 v6, vcc_lo, v6, v10, vcc_lo
	v_mul_hi_u32 v15, v7, v2
	v_mad_u64_u32 v[11:12], null, v8, v2, 0
	v_mad_u64_u32 v[9:10], null, v7, v6, 0
	v_mad_u64_u32 v[13:14], null, v8, v6, 0
	v_add_co_u32 v2, vcc_lo, v15, v9
	v_add_co_ci_u32_e32 v6, vcc_lo, 0, v10, vcc_lo
	v_add_co_u32 v2, vcc_lo, v2, v11
	v_add_co_ci_u32_e32 v2, vcc_lo, v6, v12, vcc_lo
	v_add_co_ci_u32_e32 v6, vcc_lo, 0, v14, vcc_lo
	v_add_co_u32 v2, vcc_lo, v2, v13
	v_add_co_ci_u32_e32 v6, vcc_lo, 0, v6, vcc_lo
	v_mul_lo_u32 v11, s19, v2
	v_mad_u64_u32 v[9:10], null, s18, v2, 0
	v_mul_lo_u32 v12, s18, v6
	v_sub_co_u32 v9, vcc_lo, v7, v9
	v_add3_u32 v10, v10, v12, v11
	v_sub_nc_u32_e32 v11, v8, v10
	v_subrev_co_ci_u32_e64 v11, s0, s19, v11, vcc_lo
	v_add_co_u32 v12, s0, v2, 2
	v_add_co_ci_u32_e64 v13, s0, 0, v6, s0
	v_sub_co_u32 v14, s0, v9, s18
	v_sub_co_ci_u32_e32 v10, vcc_lo, v8, v10, vcc_lo
	v_subrev_co_ci_u32_e64 v11, s0, 0, v11, s0
	v_cmp_le_u32_e32 vcc_lo, s18, v14
	v_cmp_eq_u32_e64 s0, s19, v10
	v_cndmask_b32_e64 v14, 0, -1, vcc_lo
	v_cmp_le_u32_e32 vcc_lo, s19, v11
	v_cndmask_b32_e64 v15, 0, -1, vcc_lo
	v_cmp_le_u32_e32 vcc_lo, s18, v9
	;; [unrolled: 2-line block ×3, first 2 shown]
	v_cndmask_b32_e64 v16, 0, -1, vcc_lo
	v_cmp_eq_u32_e32 vcc_lo, s19, v11
	v_cndmask_b32_e64 v9, v16, v9, s0
	v_cndmask_b32_e32 v11, v15, v14, vcc_lo
	v_add_co_u32 v14, vcc_lo, v2, 1
	v_add_co_ci_u32_e32 v15, vcc_lo, 0, v6, vcc_lo
	v_cmp_ne_u32_e32 vcc_lo, 0, v11
	v_cndmask_b32_e32 v10, v15, v13, vcc_lo
	v_cndmask_b32_e32 v11, v14, v12, vcc_lo
	v_cmp_ne_u32_e32 vcc_lo, 0, v9
	v_cndmask_b32_e32 v14, v6, v10, vcc_lo
	v_cndmask_b32_e32 v13, v2, v11, vcc_lo
.LBB0_4:                                ;   in Loop: Header=BB0_2 Depth=1
	s_andn2_saveexec_b32 s0, s1
	s_cbranch_execz .LBB0_6
; %bb.5:                                ;   in Loop: Header=BB0_2 Depth=1
	v_cvt_f32_u32_e32 v2, s18
	s_sub_i32 s1, 0, s18
	v_mov_b32_e32 v14, v5
	v_rcp_iflag_f32_e32 v2, v2
	v_mul_f32_e32 v2, 0x4f7ffffe, v2
	v_cvt_u32_f32_e32 v2, v2
	v_mul_lo_u32 v6, s1, v2
	v_mul_hi_u32 v6, v2, v6
	v_add_nc_u32_e32 v2, v2, v6
	v_mul_hi_u32 v2, v7, v2
	v_mul_lo_u32 v6, v2, s18
	v_add_nc_u32_e32 v9, 1, v2
	v_sub_nc_u32_e32 v6, v7, v6
	v_subrev_nc_u32_e32 v10, s18, v6
	v_cmp_le_u32_e32 vcc_lo, s18, v6
	v_cndmask_b32_e32 v6, v6, v10, vcc_lo
	v_cndmask_b32_e32 v2, v2, v9, vcc_lo
	v_cmp_le_u32_e32 vcc_lo, s18, v6
	v_add_nc_u32_e32 v9, 1, v2
	v_cndmask_b32_e32 v13, v2, v9, vcc_lo
.LBB0_6:                                ;   in Loop: Header=BB0_2 Depth=1
	s_or_b32 exec_lo, exec_lo, s0
	s_load_dwordx2 s[0:1], s[6:7], 0x0
	v_mul_lo_u32 v2, v14, s18
	v_mul_lo_u32 v6, v13, s19
	v_mad_u64_u32 v[9:10], null, v13, s18, 0
	s_add_u32 s16, s16, 1
	s_addc_u32 s17, s17, 0
	s_add_u32 s6, s6, 8
	s_addc_u32 s7, s7, 0
	;; [unrolled: 2-line block ×3, first 2 shown]
	v_add3_u32 v2, v10, v6, v2
	v_sub_co_u32 v6, vcc_lo, v7, v9
	v_sub_co_ci_u32_e32 v2, vcc_lo, v8, v2, vcc_lo
	s_waitcnt lgkmcnt(0)
	v_mul_lo_u32 v7, s1, v6
	v_mul_lo_u32 v2, s0, v2
	v_mad_u64_u32 v[3:4], null, s0, v6, v[3:4]
	v_cmp_ge_u64_e64 s0, s[16:17], s[10:11]
	s_and_b32 vcc_lo, exec_lo, s0
	v_add3_u32 v4, v7, v4, v2
	s_cbranch_vccnz .LBB0_8
; %bb.7:                                ;   in Loop: Header=BB0_2 Depth=1
	v_mov_b32_e32 v7, v13
	v_mov_b32_e32 v8, v14
	s_branch .LBB0_2
.LBB0_8:
	s_lshl_b64 s[0:1], s[10:11], 3
	v_mul_hi_u32 v2, 0xcccccccd, v1
	s_add_u32 s0, s12, s0
	s_addc_u32 s1, s13, s1
	v_mul_hi_u32 v5, 0xaaaaaab, v0
	s_load_dwordx2 s[0:1], s[0:1], 0x0
	s_load_dwordx2 s[4:5], s[4:5], 0x20
	v_lshrrev_b32_e32 v2, 2, v2
	v_mul_u32_u24_e32 v5, 24, v5
	v_lshl_add_u32 v6, v2, 2, v2
	v_sub_nc_u32_e32 v0, v0, v5
	v_sub_nc_u32_e32 v15, v1, v6
	v_add_nc_u32_e32 v12, 48, v0
	v_or_b32_e32 v6, 0x60, v0
	v_add_nc_u32_e32 v10, 0x48, v0
	s_waitcnt lgkmcnt(0)
	v_mul_lo_u32 v5, s0, v14
	v_mul_lo_u32 v7, s1, v13
	v_mad_u64_u32 v[2:3], null, s0, v13, v[3:4]
	v_cmp_gt_u64_e32 vcc_lo, s[4:5], v[13:14]
	v_cmp_le_u64_e64 s0, s[4:5], v[13:14]
	v_add_nc_u32_e32 v4, 24, v0
	v_add_nc_u32_e32 v8, 0x78, v0
	v_add3_u32 v3, v7, v3, v5
	s_and_saveexec_b32 s1, s0
	s_xor_b32 s0, exec_lo, s1
; %bb.9:
	v_mov_b32_e32 v1, 0
	v_add_nc_u32_e32 v4, 24, v0
	v_add_nc_u32_e32 v12, 48, v0
	v_or_b32_e32 v6, 0x60, v0
	v_add_nc_u32_e32 v10, 0x48, v0
	v_add_nc_u32_e32 v8, 0x78, v0
	v_mov_b32_e32 v5, v1
	v_mov_b32_e32 v13, v1
	;; [unrolled: 1-line block ×5, first 2 shown]
; %bb.10:
	s_or_saveexec_b32 s1, s0
	v_mul_u32_u24_e32 v14, 0x121, v15
	v_lshlrev_b64 v[2:3], 2, v[2:3]
	v_lshlrev_b32_e32 v19, 2, v0
	v_lshlrev_b32_e32 v21, 2, v14
	s_xor_b32 exec_lo, exec_lo, s1
	s_cbranch_execz .LBB0_12
; %bb.11:
	v_mov_b32_e32 v1, 0
	v_add_co_u32 v5, s0, s2, v2
	v_add_co_ci_u32_e64 v7, s0, s3, v3, s0
	v_lshlrev_b64 v[13:14], 2, v[0:1]
	v_add3_u32 v28, 0, v21, v19
	v_mov_b32_e32 v11, v1
	v_mov_b32_e32 v9, v1
	v_add_nc_u32_e32 v29, 0x200, v28
	v_add_co_u32 v13, s0, v5, v13
	v_add_co_ci_u32_e64 v14, s0, v7, v14, s0
	v_mov_b32_e32 v5, v1
	v_mov_b32_e32 v7, v1
	s_clause 0xb
	global_load_dword v15, v[13:14], off
	global_load_dword v16, v[13:14], off offset:96
	global_load_dword v17, v[13:14], off offset:192
	;; [unrolled: 1-line block ×11, first 2 shown]
	v_mov_b32_e32 v13, v1
	s_waitcnt vmcnt(10)
	ds_write2_b32 v28, v15, v16 offset1:24
	s_waitcnt vmcnt(8)
	ds_write2_b32 v28, v17, v18 offset0:48 offset1:72
	s_waitcnt vmcnt(6)
	ds_write2_b32 v28, v20, v22 offset0:96 offset1:120
	;; [unrolled: 2-line block ×5, first 2 shown]
.LBB0_12:
	s_or_b32 exec_lo, exec_lo, s1
	v_add3_u32 v20, 0, v19, v21
	s_waitcnt lgkmcnt(0)
	s_barrier
	buffer_gl0_inv
	v_add_nc_u32_e32 v18, 0, v21
	ds_read2_b32 v[14:15], v20 offset0:24 offset1:48
	ds_read2_b32 v[22:23], v20 offset0:72 offset1:96
	;; [unrolled: 1-line block ×5, first 2 shown]
	ds_read_b32 v16, v20 offset:1056
	v_mul_i32_i24_e32 v30, 6, v4
	v_add_nc_u32_e32 v17, v18, v19
	v_mad_u32_u24 v31, v0, 20, v20
	v_cmp_gt_u32_e64 s0, 12, v0
	v_mul_u32_u24_e32 v41, 3, v0
	v_lshl_add_u32 v36, v30, 2, v18
	ds_read_b32 v32, v17
	s_waitcnt lgkmcnt(0)
	s_barrier
	buffer_gl0_inv
	v_lshlrev_b32_e32 v52, 2, v41
	v_pk_add_f16 v30, v14, v24
	v_pk_add_f16 v34, v15, v25
	;; [unrolled: 1-line block ×3, first 2 shown]
	v_pk_add_f16 v25, v25, v29 neg_lo:[0,1] neg_hi:[0,1]
	v_pk_add_f16 v35, v23, v27
	v_pk_add_f16 v39, v24, v28
	v_pk_add_f16 v24, v24, v28 neg_lo:[0,1] neg_hi:[0,1]
	v_pk_fma_f16 v15, v37, 0.5, v15 op_sel_hi:[1,0,1] neg_lo:[1,0,0] neg_hi:[1,0,0]
	v_pk_add_f16 v28, v30, v28
	v_pk_add_f16 v33, v22, v26
	v_pk_add_f16 v38, v23, v27 neg_lo:[0,1] neg_hi:[0,1]
	v_pk_add_f16 v23, v32, v23
	v_pk_fma_f16 v30, 0x3aee, v25, v15 op_sel:[0,0,1] op_sel_hi:[0,1,0] neg_lo:[0,1,0] neg_hi:[0,1,0]
	v_pk_fma_f16 v15, 0x3aee, v25, v15 op_sel:[0,0,1] op_sel_hi:[0,1,0]
	v_pk_fma_f16 v25, v35, 0.5, v32 op_sel_hi:[1,0,1] neg_lo:[1,0,0] neg_hi:[1,0,0]
	v_pk_add_f16 v37, v26, v16
	v_pk_add_f16 v26, v26, v16 neg_lo:[0,1] neg_hi:[0,1]
	v_pk_mul_f16 v32, 0x3aee, v30 op_sel_hi:[0,1]
	v_pk_add_f16 v16, v33, v16
	v_pk_add_f16 v29, v34, v29
	v_lshrrev_b32_e32 v33, 16, v30
	v_lshrrev_b32_e32 v34, 16, v15
	v_mul_f16_e32 v30, -0.5, v30
	v_pk_fma_f16 v35, 0xb8003800, v15, v32 op_sel:[0,0,1] op_sel_hi:[1,1,0]
	v_pk_fma_f16 v32, 0xb8003800, v15, v32 op_sel:[0,0,1] op_sel_hi:[1,1,0] neg_lo:[0,0,1] neg_hi:[0,0,1]
	v_pk_fma_f16 v14, v39, 0.5, v14 op_sel_hi:[1,0,1] neg_lo:[1,0,0] neg_hi:[1,0,0]
	v_mul_f16_e32 v15, 0xbaee, v15
	v_pk_fma_f16 v39, 0x3aee, v38, v25 op_sel:[0,0,1] op_sel_hi:[0,1,0] neg_lo:[0,1,0] neg_hi:[0,1,0]
	v_pk_fma_f16 v25, 0x3aee, v38, v25 op_sel:[0,0,1] op_sel_hi:[0,1,0]
	v_fmac_f16_e32 v30, 0x3aee, v34
	v_bfi_b32 v34, 0xffff, v35, v32
	v_fmac_f16_e32 v15, 0.5, v33
	v_pk_fma_f16 v22, v37, 0.5, v22 op_sel_hi:[1,0,1] neg_lo:[1,0,0] neg_hi:[1,0,0]
	v_pk_add_f16 v23, v23, v27
	v_add_f16_e32 v37, v39, v30
	v_pk_add_f16 v34, v25, v34
	v_add_f16_sdwa v38, v39, v15 dst_sel:DWORD dst_unused:UNUSED_PAD src0_sel:WORD_1 src1_sel:DWORD
	v_pack_b32_f16 v15, v15, v35
	v_alignbit_b32 v27, v25, v39, 16
	v_alignbit_b32 v25, v39, v25, 16
	;; [unrolled: 1-line block ×3, first 2 shown]
	v_pk_fma_f16 v37, 0x3aee, v26, v22 op_sel:[0,0,1] op_sel_hi:[0,1,0] neg_lo:[0,1,0] neg_hi:[0,1,0]
	v_pack_b32_f16 v34, v38, v34
	v_pk_fma_f16 v22, 0x3aee, v26, v22 op_sel:[0,0,1] op_sel_hi:[0,1,0]
	v_pk_add_f16 v15, v27, v15 neg_lo:[0,1] neg_hi:[0,1]
	v_alignbit_b32 v27, v30, v32, 16
	v_pk_mul_f16 v26, 0x3aee, v37 op_sel_hi:[0,1]
	ds_write2_b32 v31, v34, v35 offset0:1 offset1:2
	v_lshrrev_b32_e32 v30, 16, v37
	v_lshrrev_b32_e32 v34, 16, v22
	v_mul_f16_e32 v35, -0.5, v37
	v_pk_fma_f16 v32, 0xb8003800, v22, v26 op_sel:[0,0,1] op_sel_hi:[1,1,0]
	v_pk_fma_f16 v26, 0xb8003800, v22, v26 op_sel:[0,0,1] op_sel_hi:[1,1,0] neg_lo:[0,0,1] neg_hi:[0,0,1]
	v_mul_f16_e32 v22, 0xbaee, v22
	v_and_b32_e32 v37, 0xff, v0
	v_pk_add_f16 v38, v23, v29
	v_pk_add_f16 v23, v23, v29 neg_lo:[0,1] neg_hi:[0,1]
	v_pk_fma_f16 v29, 0x3aee, v24, v14 op_sel:[0,0,1] op_sel_hi:[0,1,0] neg_lo:[0,1,0] neg_hi:[0,1,0]
	v_pk_fma_f16 v14, 0x3aee, v24, v14 op_sel:[0,0,1] op_sel_hi:[0,1,0]
	v_bfi_b32 v24, 0xffff, v32, v26
	v_fmac_f16_e32 v35, 0x3aee, v34
	v_fmac_f16_e32 v22, 0.5, v30
	v_mul_lo_u16 v30, 0xab, v37
	v_pk_add_f16 v25, v25, v27 neg_lo:[0,1] neg_hi:[0,1]
	v_pk_add_f16 v24, v14, v24
	v_add_f16_e32 v27, v29, v35
	v_add_f16_sdwa v34, v29, v22 dst_sel:DWORD dst_unused:UNUSED_PAD src0_sel:WORD_1 src1_sel:DWORD
	v_lshrrev_b16 v37, 10, v30
	ds_write2_b32 v31, v23, v15 offset0:3 offset1:4
	ds_write2_b32 v31, v38, v25 offset1:5
	v_alignbit_b32 v25, v14, v29, 16
	v_alignbit_b32 v15, v27, v24, 16
	v_pack_b32_f16 v23, v34, v24
	v_mul_lo_u16 v24, v37, 6
	v_pack_b32_f16 v22, v22, v32
	v_alignbit_b32 v14, v29, v14, 16
	v_alignbit_b32 v26, v35, v26, 16
	v_pk_add_f16 v33, v28, v16
	v_sub_nc_u16 v40, v0, v24
	v_and_b32_e32 v24, 0xff, v4
	v_pk_add_f16 v16, v28, v16 neg_lo:[0,1] neg_hi:[0,1]
	v_pk_add_f16 v22, v25, v22 neg_lo:[0,1] neg_hi:[0,1]
	;; [unrolled: 1-line block ×3, first 2 shown]
	v_mov_b32_e32 v27, 5
	v_mul_lo_u16 v24, 0xab, v24
	ds_write2_b32 v36, v23, v15 offset0:1 offset1:2
	ds_write2_b32 v36, v16, v22 offset0:3 offset1:4
	ds_write2_b32 v36, v33, v14 offset1:5
	s_waitcnt lgkmcnt(0)
	s_barrier
	v_mul_u32_u24_sdwa v25, v40, v27 dst_sel:DWORD dst_unused:UNUSED_PAD src0_sel:BYTE_0 src1_sel:DWORD
	v_lshrrev_b16 v14, 10, v24
	buffer_gl0_inv
	v_add_nc_u32_e32 v26, -12, v0
	v_lshl_add_u32 v23, v6, 2, v18
	v_lshlrev_b32_e32 v15, 2, v25
	v_mul_lo_u16 v16, v14, 6
	v_lshl_add_u32 v25, v12, 2, v18
	v_cndmask_b32_e64 v45, v26, v4, s0
	v_mad_i32_i24 v26, 0xffffffec, v4, v36
	global_load_dwordx4 v[28:31], v15, s[8:9]
	v_sub_nc_u16 v16, v4, v16
	v_lshl_add_u32 v24, v10, 2, v18
	v_and_b32_e32 v44, 0xffff, v37
	v_and_b32_e32 v51, 0xffff, v14
	v_mul_i32_i24_e32 v14, 3, v45
	v_mul_u32_u24_sdwa v22, v16, v27 dst_sel:DWORD dst_unused:UNUSED_PAD src0_sel:BYTE_0 src1_sel:DWORD
	v_add_nc_u32_e32 v27, 0x200, v20
	v_mad_u32_u24 v44, 0x90, v44, 0
	v_mad_u32_u24 v51, 0x90, v51, 0
	v_lshlrev_b32_e32 v45, 2, v45
	v_lshlrev_b32_e32 v22, 2, v22
	s_clause 0x2
	global_load_dwordx4 v[32:35], v22, s[8:9]
	global_load_dword v42, v15, s[8:9] offset:16
	global_load_dword v43, v22, s[8:9] offset:16
	ds_read_b32 v46, v17
	ds_read_b32 v47, v25
	;; [unrolled: 1-line block ×5, first 2 shown]
	v_mov_b32_e32 v22, 2
	ds_read2_b32 v[38:39], v20 offset0:192 offset1:216
	ds_read2_b32 v[36:37], v20 offset0:144 offset1:168
	v_mov_b32_e32 v15, 0
	v_lshlrev_b32_sdwa v40, v22, v40 dst_sel:DWORD dst_unused:UNUSED_PAD src0_sel:DWORD src1_sel:BYTE_0
	v_lshlrev_b32_sdwa v16, v22, v16 dst_sel:DWORD dst_unused:UNUSED_PAD src0_sel:DWORD src1_sel:BYTE_0
	v_lshl_add_u32 v22, v8, 2, v18
	v_lshlrev_b64 v[14:15], 2, v[14:15]
	v_add3_u32 v44, v44, v40, v21
	v_add3_u32 v16, v51, v16, v21
	ds_read2_b32 v[40:41], v27 offset0:112 offset1:136
	ds_read_b32 v51, v22
	s_waitcnt vmcnt(0) lgkmcnt(0)
	s_barrier
	buffer_gl0_inv
	v_lshrrev_b32_e32 v53, 16, v47
	v_lshrrev_b32_e32 v55, 16, v48
	v_add_co_u32 v14, s0, s8, v14
	v_lshrrev_b32_e32 v54, 16, v50
	v_lshrrev_b32_e32 v58, 16, v38
	;; [unrolled: 1-line block ×3, first 2 shown]
	v_add_co_ci_u32_e64 v15, s0, s9, v15, s0
	v_cmp_lt_u32_e64 s0, 11, v0
	v_mul_f16_sdwa v57, v28, v53 dst_sel:DWORD dst_unused:UNUSED_PAD src0_sel:WORD_1 src1_sel:DWORD
	v_mul_f16_sdwa v59, v28, v47 dst_sel:DWORD dst_unused:UNUSED_PAD src0_sel:WORD_1 src1_sel:DWORD
	;; [unrolled: 1-line block ×4, first 2 shown]
	v_fmac_f16_e32 v57, v28, v47
	v_fma_f16 v28, v28, v53, -v59
	v_mul_f16_sdwa v53, v30, v36 dst_sel:DWORD dst_unused:UNUSED_PAD src0_sel:WORD_1 src1_sel:DWORD
	v_fmac_f16_e32 v60, v29, v48
	v_mul_f16_sdwa v48, v31, v38 dst_sel:DWORD dst_unused:UNUSED_PAD src0_sel:WORD_1 src1_sel:DWORD
	v_fma_f16 v29, v29, v55, -v61
	v_mul_f16_sdwa v55, v31, v58 dst_sel:DWORD dst_unused:UNUSED_PAD src0_sel:WORD_1 src1_sel:DWORD
	v_mul_f16_sdwa v47, v30, v56 dst_sel:DWORD dst_unused:UNUSED_PAD src0_sel:WORD_1 src1_sel:DWORD
	v_fma_f16 v53, v30, v56, -v53
	v_lshrrev_b32_e32 v56, 16, v37
	v_fma_f16 v48, v31, v58, -v48
	v_lshrrev_b32_e32 v58, 16, v39
	v_fmac_f16_e32 v55, v31, v38
	v_lshrrev_b32_e32 v31, 16, v51
	v_mul_f16_sdwa v38, v54, v32 dst_sel:DWORD dst_unused:UNUSED_PAD src0_sel:DWORD src1_sel:WORD_1
	v_fmac_f16_e32 v47, v30, v36
	v_mul_f16_sdwa v30, v56, v34 dst_sel:DWORD dst_unused:UNUSED_PAD src0_sel:DWORD src1_sel:WORD_1
	v_mul_f16_sdwa v36, v58, v35 dst_sel:DWORD dst_unused:UNUSED_PAD src0_sel:DWORD src1_sel:WORD_1
	;; [unrolled: 1-line block ×4, first 2 shown]
	v_fmac_f16_e32 v38, v50, v32
	v_mul_f16_sdwa v50, v51, v33 dst_sel:DWORD dst_unused:UNUSED_PAD src0_sel:DWORD src1_sel:WORD_1
	v_fmac_f16_e32 v30, v37, v34
	v_mul_f16_sdwa v37, v37, v34 dst_sel:DWORD dst_unused:UNUSED_PAD src0_sel:DWORD src1_sel:WORD_1
	v_fmac_f16_e32 v36, v39, v35
	v_mul_f16_sdwa v39, v39, v35 dst_sel:DWORD dst_unused:UNUSED_PAD src0_sel:DWORD src1_sel:WORD_1
	v_fma_f16 v32, v54, v32, -v59
	v_lshrrev_b32_e32 v54, 16, v40
	v_fmac_f16_e32 v61, v51, v33
	v_fma_f16 v31, v31, v33, -v50
	v_lshrrev_b32_e32 v33, 16, v41
	v_fma_f16 v34, v56, v34, -v37
	v_mul_f16_sdwa v37, v54, v42 dst_sel:DWORD dst_unused:UNUSED_PAD src0_sel:DWORD src1_sel:WORD_1
	v_fma_f16 v35, v58, v35, -v39
	v_mul_f16_sdwa v39, v40, v42 dst_sel:DWORD dst_unused:UNUSED_PAD src0_sel:DWORD src1_sel:WORD_1
	v_mul_f16_sdwa v50, v33, v43 dst_sel:DWORD dst_unused:UNUSED_PAD src0_sel:DWORD src1_sel:WORD_1
	v_lshrrev_b32_e32 v51, 16, v46
	v_mul_f16_sdwa v56, v41, v43 dst_sel:DWORD dst_unused:UNUSED_PAD src0_sel:DWORD src1_sel:WORD_1
	v_fmac_f16_e32 v37, v40, v42
	v_fma_f16 v39, v54, v42, -v39
	v_fmac_f16_e32 v50, v41, v43
	v_add_f16_e32 v40, v46, v60
	v_add_f16_e32 v41, v60, v55
	v_fma_f16 v33, v33, v43, -v56
	v_add_f16_e32 v43, v51, v29
	v_sub_f16_e32 v54, v60, v55
	v_sub_f16_e32 v60, v53, v39
	v_add_f16_e32 v40, v40, v55
	v_add_f16_e32 v55, v28, v53
	;; [unrolled: 1-line block ×3, first 2 shown]
	v_fmac_f16_e32 v46, -0.5, v41
	v_add_f16_e32 v41, v49, v61
	v_lshrrev_b32_e32 v58, 16, v49
	v_add_f16_e32 v56, v57, v47
	v_sub_f16_e32 v42, v29, v48
	v_add_f16_e32 v29, v29, v48
	v_add_f16_e32 v59, v47, v37
	;; [unrolled: 1-line block ×4, first 2 shown]
	v_sub_f16_e32 v61, v61, v36
	v_add_f16_e32 v39, v55, v39
	v_add_f16_e32 v55, v30, v50
	v_fmac_f16_e32 v28, -0.5, v53
	v_sub_f16_e32 v53, v34, v33
	v_add_f16_e32 v36, v41, v36
	v_add_f16_e32 v41, v32, v34
	;; [unrolled: 1-line block ×3, first 2 shown]
	v_sub_f16_e32 v47, v47, v37
	v_add_f16_e32 v37, v56, v37
	v_add_f16_e32 v56, v58, v31
	v_fmac_f16_e32 v51, -0.5, v29
	v_sub_f16_e32 v29, v31, v35
	v_add_f16_e32 v31, v31, v35
	v_fmac_f16_e32 v57, -0.5, v59
	v_add_f16_e32 v59, v38, v30
	v_sub_f16_e32 v30, v30, v50
	v_fmac_f16_e32 v38, -0.5, v55
	v_fmac_f16_e32 v32, -0.5, v34
	;; [unrolled: 1-line block ×3, first 2 shown]
	v_add_f16_e32 v35, v56, v35
	v_add_f16_e32 v33, v41, v33
	v_fmamk_f16 v48, v47, 0x3aee, v28
	v_fmac_f16_e32 v58, -0.5, v31
	v_add_f16_e32 v31, v59, v50
	v_fmac_f16_e32 v28, 0xbaee, v47
	v_add_f16_e32 v50, v43, v39
	v_sub_f16_e32 v39, v43, v39
	v_fmamk_f16 v43, v53, 0xbaee, v38
	v_fmac_f16_e32 v38, 0x3aee, v53
	v_fmamk_f16 v53, v30, 0x3aee, v32
	v_fmac_f16_e32 v32, 0xbaee, v30
	;; [unrolled: 2-line block ×4, first 2 shown]
	v_fmamk_f16 v42, v60, 0xbaee, v57
	v_add_f16_e32 v54, v35, v33
	v_sub_f16_e32 v33, v35, v33
	v_mul_f16_e32 v35, 0xbaee, v48
	v_mul_f16_e32 v48, 0.5, v48
	v_fmac_f16_e32 v57, 0x3aee, v60
	v_add_f16_e32 v30, v36, v31
	v_sub_f16_e32 v31, v36, v31
	v_mul_f16_e32 v36, 0xbaee, v28
	v_mul_f16_e32 v28, -0.5, v28
	v_mul_f16_e32 v55, 0xbaee, v53
	v_mul_f16_e32 v53, 0.5, v53
	v_mul_f16_e32 v56, 0xbaee, v32
	v_mul_f16_e32 v32, -0.5, v32
	v_add_f16_e32 v47, v40, v37
	v_sub_f16_e32 v37, v40, v37
	v_fmac_f16_e32 v35, 0.5, v42
	v_fmac_f16_e32 v48, 0x3aee, v42
	v_fmac_f16_e32 v36, -0.5, v57
	v_fmac_f16_e32 v28, 0x3aee, v57
	v_fmamk_f16 v40, v29, 0xbaee, v49
	v_fmac_f16_e32 v49, 0x3aee, v29
	v_fmamk_f16 v29, v61, 0x3aee, v58
	v_fmac_f16_e32 v55, 0.5, v43
	v_fmac_f16_e32 v53, 0x3aee, v43
	v_fmac_f16_e32 v58, 0xbaee, v61
	v_fmac_f16_e32 v56, -0.5, v38
	v_fmac_f16_e32 v32, 0x3aee, v38
	v_pack_b32_f16 v37, v37, v39
	v_pack_b32_f16 v31, v31, v33
	v_add_f16_e32 v33, v34, v35
	v_add_f16_e32 v39, v41, v48
	;; [unrolled: 1-line block ×4, first 2 shown]
	v_sub_f16_e32 v34, v34, v35
	v_sub_f16_e32 v35, v46, v36
	;; [unrolled: 1-line block ×4, first 2 shown]
	v_add_f16_e32 v41, v40, v55
	v_add_f16_e32 v46, v29, v53
	;; [unrolled: 1-line block ×4, first 2 shown]
	v_sub_f16_e32 v40, v40, v55
	v_sub_f16_e32 v29, v29, v53
	v_pack_b32_f16 v47, v47, v50
	v_sub_f16_e32 v49, v49, v56
	v_sub_f16_e32 v32, v58, v32
	v_pack_b32_f16 v33, v33, v39
	v_pack_b32_f16 v38, v38, v42
	;; [unrolled: 1-line block ×9, first 2 shown]
	ds_write2_b32 v44, v47, v33 offset1:6
	ds_write2_b32 v44, v38, v37 offset0:12 offset1:18
	ds_write2_b32 v44, v34, v28 offset0:24 offset1:30
	ds_write2_b32 v16, v30, v35 offset1:6
	ds_write2_b32 v16, v36, v31 offset0:12 offset1:18
	ds_write2_b32 v16, v29, v32 offset0:24 offset1:30
	s_waitcnt lgkmcnt(0)
	s_barrier
	buffer_gl0_inv
	s_clause 0x2
	global_load_dwordx3 v[28:30], v52, s[8:9] offset:120
	global_load_dwordx3 v[31:33], v[14:15], off offset:120
	global_load_dwordx3 v[34:36], v52, s[8:9] offset:264
	v_lshlrev_b64 v[15:16], 2, v[0:1]
	v_lshlrev_b64 v[37:38], 2, v[4:5]
	v_cndmask_b32_e64 v14, 0, 0x240, s0
	v_lshlrev_b64 v[39:40], 2, v[12:13]
	v_lshlrev_b64 v[41:42], 2, v[10:11]
	;; [unrolled: 1-line block ×3, first 2 shown]
	v_add_co_u32 v15, s0, s8, v15
	v_add_co_ci_u32_e64 v16, s0, s9, v16, s0
	v_add_co_u32 v13, s0, s8, v37
	v_add_nc_u32_e32 v1, 0, v14
	v_add_co_ci_u32_e64 v14, s0, s9, v38, s0
	v_add_co_u32 v11, s0, s8, v39
	v_add_co_ci_u32_e64 v12, s0, s9, v40, s0
	v_add_co_u32 v9, s0, s8, v41
	v_add_co_ci_u32_e64 v10, s0, s9, v42, s0
	ds_read2_b32 v[37:38], v20 offset0:144 offset1:168
	ds_read2_b32 v[39:40], v27 offset0:112 offset1:136
	ds_read_b32 v46, v24
	ds_read_b32 v47, v22
	ds_read2_b32 v[41:42], v20 offset0:192 offset1:216
	v_lshlrev_b64 v[5:6], 2, v[6:7]
	v_add3_u32 v1, v1, v45, v21
	v_add_co_u32 v7, s0, s8, v5
	v_add_co_ci_u32_e64 v8, s0, s9, v6, s0
	v_add_co_u32 v5, s0, s8, v43
	v_add_co_ci_u32_e64 v6, s0, s9, v44, s0
	ds_read_b32 v21, v17
	ds_read_b32 v43, v26
	;; [unrolled: 1-line block ×4, first 2 shown]
	s_waitcnt lgkmcnt(8)
	v_lshrrev_b32_e32 v53, 16, v37
	v_lshrrev_b32_e32 v56, 16, v38
	s_waitcnt lgkmcnt(6)
	v_lshrrev_b32_e32 v50, 16, v46
	v_lshrrev_b32_e32 v48, 16, v39
	;; [unrolled: 3-line block ×3, first 2 shown]
	v_lshrrev_b32_e32 v51, 16, v41
	v_lshrrev_b32_e32 v52, 16, v40
	s_waitcnt vmcnt(0) lgkmcnt(0)
	s_barrier
	buffer_gl0_inv
	v_cmp_ne_u32_e64 s0, 0, v0
	v_mul_f16_sdwa v55, v28, v50 dst_sel:DWORD dst_unused:UNUSED_PAD src0_sel:WORD_1 src1_sel:DWORD
	v_mul_f16_sdwa v57, v28, v46 dst_sel:DWORD dst_unused:UNUSED_PAD src0_sel:WORD_1 src1_sel:DWORD
	;; [unrolled: 1-line block ×4, first 2 shown]
	v_fmac_f16_e32 v55, v28, v46
	v_mul_f16_sdwa v46, v30, v42 dst_sel:DWORD dst_unused:UNUSED_PAD src0_sel:WORD_1 src1_sel:DWORD
	v_fma_f16 v28, v28, v50, -v57
	v_mul_f16_sdwa v50, v30, v54 dst_sel:DWORD dst_unused:UNUSED_PAD src0_sel:WORD_1 src1_sel:DWORD
	v_lshrrev_b32_e32 v57, 16, v44
	v_fmac_f16_e32 v58, v29, v37
	v_fma_f16 v46, v30, v54, -v46
	v_mul_f16_sdwa v54, v32, v56 dst_sel:DWORD dst_unused:UNUSED_PAD src0_sel:WORD_1 src1_sel:DWORD
	v_fmac_f16_e32 v50, v30, v42
	v_mul_f16_sdwa v30, v31, v57 dst_sel:DWORD dst_unused:UNUSED_PAD src0_sel:WORD_1 src1_sel:DWORD
	v_mul_f16_sdwa v37, v31, v44 dst_sel:DWORD dst_unused:UNUSED_PAD src0_sel:WORD_1 src1_sel:DWORD
	v_fma_f16 v53, v29, v53, -v59
	v_fmac_f16_e32 v54, v32, v38
	v_mul_f16_sdwa v38, v32, v38 dst_sel:DWORD dst_unused:UNUSED_PAD src0_sel:WORD_1 src1_sel:DWORD
	v_fmac_f16_e32 v30, v31, v44
	v_mul_f16_sdwa v44, v39, v33 dst_sel:DWORD dst_unused:UNUSED_PAD src0_sel:DWORD src1_sel:WORD_1
	v_fma_f16 v31, v31, v57, -v37
	v_mul_f16_sdwa v37, v48, v33 dst_sel:DWORD dst_unused:UNUSED_PAD src0_sel:DWORD src1_sel:WORD_1
	v_fma_f16 v32, v32, v56, -v38
	;; [unrolled: 2-line block ×3, first 2 shown]
	v_mul_f16_sdwa v48, v47, v34 dst_sel:DWORD dst_unused:UNUSED_PAD src0_sel:DWORD src1_sel:WORD_1
	v_fmac_f16_e32 v37, v39, v33
	v_mul_f16_sdwa v33, v51, v35 dst_sel:DWORD dst_unused:UNUSED_PAD src0_sel:DWORD src1_sel:WORD_1
	v_mul_f16_sdwa v39, v41, v35 dst_sel:DWORD dst_unused:UNUSED_PAD src0_sel:DWORD src1_sel:WORD_1
	;; [unrolled: 1-line block ×3, first 2 shown]
	v_fmac_f16_e32 v38, v47, v34
	v_mul_f16_sdwa v47, v40, v36 dst_sel:DWORD dst_unused:UNUSED_PAD src0_sel:DWORD src1_sel:WORD_1
	v_lshrrev_b32_e32 v29, 16, v21
	v_lshrrev_b32_e32 v42, 16, v43
	v_fma_f16 v34, v49, v34, -v48
	v_lshrrev_b32_e32 v48, 16, v45
	v_fmac_f16_e32 v33, v41, v35
	v_fma_f16 v35, v51, v35, -v39
	v_fmac_f16_e32 v56, v40, v36
	v_fma_f16 v36, v52, v36, -v47
	v_sub_f16_e32 v39, v21, v58
	v_sub_f16_e32 v40, v29, v53
	;; [unrolled: 1-line block ×12, first 2 shown]
	v_fma_f16 v21, v21, 2.0, -v39
	v_fma_f16 v29, v29, 2.0, -v40
	;; [unrolled: 1-line block ×12, first 2 shown]
	v_add_f16_e32 v46, v39, v46
	v_sub_f16_e32 v41, v40, v41
	v_sub_f16_e32 v50, v21, v50
	v_sub_f16_e32 v28, v29, v28
	v_add_f16_e32 v44, v47, v44
	v_sub_f16_e32 v37, v32, v37
	v_sub_f16_e32 v30, v43, v30
	v_sub_f16_e32 v31, v42, v31
	;; [unrolled: 4-line block ×3, first 2 shown]
	v_fma_f16 v39, v39, 2.0, -v46
	v_fma_f16 v40, v40, 2.0, -v41
	;; [unrolled: 1-line block ×10, first 2 shown]
	v_pack_b32_f16 v37, v44, v37
	v_fma_f16 v44, v45, 2.0, -v38
	v_fma_f16 v45, v48, 2.0, -v34
	v_pack_b32_f16 v41, v46, v41
	v_pack_b32_f16 v28, v50, v28
	;; [unrolled: 1-line block ×11, first 2 shown]
	ds_write2_b32 v20, v28, v41 offset0:72 offset1:108
	ds_write2_b32 v20, v21, v39 offset1:36
	ds_write2_b32 v1, v29, v32 offset1:36
	ds_write2_b32 v1, v30, v37 offset0:72 offset1:108
	ds_write2_b32 v20, v34, v31 offset0:156 offset1:192
	ds_write2_b32 v27, v33, v36 offset0:100 offset1:136
	s_waitcnt lgkmcnt(0)
	s_barrier
	buffer_gl0_inv
	s_clause 0x5
	global_load_dword v1, v[15:16], off offset:552
	global_load_dword v21, v[5:6], off offset:552
	;; [unrolled: 1-line block ×6, first 2 shown]
	ds_read2_b32 v[28:29], v20 offset0:144 offset1:168
	ds_read2_b32 v[30:31], v27 offset0:112 offset1:136
	;; [unrolled: 1-line block ×3, first 2 shown]
	ds_read_b32 v27, v17
	ds_read_b32 v38, v25
	;; [unrolled: 1-line block ×6, first 2 shown]
	s_waitcnt vmcnt(0) lgkmcnt(0)
	s_barrier
	buffer_gl0_inv
	v_pk_mul_f16 v43, v1, v28 op_sel:[0,1]
	v_pk_mul_f16 v44, v31, v21 op_sel:[0,1]
	;; [unrolled: 1-line block ×6, first 2 shown]
	v_pk_fma_f16 v49, v1, v28, v43 op_sel:[0,0,1] op_sel_hi:[1,1,0]
	v_pk_fma_f16 v1, v1, v28, v43 op_sel:[0,0,1] op_sel_hi:[1,0,0] neg_lo:[1,0,0] neg_hi:[1,0,0]
	v_pk_fma_f16 v28, v31, v21, v44 op_sel:[0,0,1] op_sel_hi:[1,1,0]
	v_pk_fma_f16 v21, v31, v21, v44 op_sel:[0,0,1] op_sel_hi:[1,0,0] neg_lo:[0,0,1] neg_hi:[0,0,1]
	;; [unrolled: 2-line block ×6, first 2 shown]
	v_bfi_b32 v1, 0xffff, v49, v1
	v_bfi_b32 v21, 0xffff, v28, v21
	v_bfi_b32 v28, 0xffff, v31, v30
	v_bfi_b32 v31, 0xffff, v35, v32
	v_bfi_b32 v29, 0xffff, v36, v29
	v_bfi_b32 v30, 0xffff, v34, v33
	v_pk_add_f16 v1, v27, v1 neg_lo:[0,1] neg_hi:[0,1]
	v_pk_add_f16 v28, v42, v28 neg_lo:[0,1] neg_hi:[0,1]
	;; [unrolled: 1-line block ×6, first 2 shown]
	v_pk_fma_f16 v27, v27, 2.0, v1 op_sel_hi:[1,0,1] neg_lo:[0,0,1] neg_hi:[0,0,1]
	v_pk_fma_f16 v34, v38, 2.0, v31 op_sel_hi:[1,0,1] neg_lo:[0,0,1] neg_hi:[0,0,1]
	;; [unrolled: 1-line block ×6, first 2 shown]
	ds_write2_b32 v20, v27, v1 offset1:144
	ds_write2_b32 v26, v33, v29 offset1:144
	;; [unrolled: 1-line block ×6, first 2 shown]
	s_waitcnt lgkmcnt(0)
	s_barrier
	buffer_gl0_inv
	ds_read_b32 v26, v17
	v_sub_nc_u32_e32 v1, v18, v19
                                        ; implicit-def: $vgpr20
                                        ; implicit-def: $vgpr19
                                        ; implicit-def: $vgpr21
	s_and_saveexec_b32 s1, s0
	s_xor_b32 s0, exec_lo, s1
	s_cbranch_execz .LBB0_14
; %bb.13:
	global_load_dword v15, v[15:16], off offset:1128
	ds_read_b32 v16, v1 offset:1152
	s_waitcnt lgkmcnt(0)
	v_pk_add_f16 v19, v26, v16 neg_lo:[0,1] neg_hi:[0,1]
	v_pk_add_f16 v16, v16, v26
	v_bfi_b32 v20, 0xffff, v19, v16
	v_bfi_b32 v16, 0xffff, v16, v19
	v_pk_mul_f16 v20, v20, 0.5 op_sel_hi:[1,0]
	v_pk_mul_f16 v21, v16, 0.5 op_sel_hi:[1,0]
	s_waitcnt vmcnt(0)
	v_pk_mul_f16 v19, v15, v20 op_sel:[1,0]
	v_pk_mul_f16 v15, v15, v20 op_sel_hi:[0,1]
	v_pk_fma_f16 v16, v16, 0.5, v19 op_sel_hi:[1,0,1]
	v_sub_f16_e32 v20, v21, v19
	v_sub_f16_sdwa v21, v19, v21 dst_sel:DWORD dst_unused:UNUSED_PAD src0_sel:WORD_1 src1_sel:WORD_1
	v_pk_add_f16 v26, v16, v15 op_sel:[0,1] op_sel_hi:[1,0]
	v_pk_add_f16 v16, v16, v15 op_sel:[0,1] op_sel_hi:[1,0] neg_lo:[0,1] neg_hi:[0,1]
	v_sub_f16_sdwa v19, v20, v15 dst_sel:DWORD dst_unused:UNUSED_PAD src0_sel:DWORD src1_sel:WORD_1
	v_sub_f16_e32 v21, v21, v15
	v_bfi_b32 v20, 0xffff, v26, v16
                                        ; implicit-def: $vgpr26
.LBB0_14:
	s_andn2_saveexec_b32 s0, s0
	s_cbranch_execz .LBB0_16
; %bb.15:
	ds_read_u16 v15, v18 offset:578
	s_waitcnt lgkmcnt(1)
	v_alignbit_b32 v16, s0, v26, 16
	v_sub_f16_sdwa v19, v26, v26 dst_sel:DWORD dst_unused:UNUSED_PAD src0_sel:DWORD src1_sel:WORD_1
	v_mov_b32_e32 v21, 0
	v_pk_add_f16 v16, v16, v26
	v_pack_b32_f16 v20, v16, 0
	s_waitcnt lgkmcnt(0)
	v_xor_b32_e32 v15, 0x8000, v15
	ds_write_b16 v18, v15 offset:578
.LBB0_16:
	s_or_b32 exec_lo, exec_lo, s0
	s_clause 0x4
	global_load_dword v13, v[13:14], off offset:1128
	global_load_dword v11, v[11:12], off offset:1128
	global_load_dword v9, v[9:10], off offset:1128
	global_load_dword v7, v[7:8], off offset:1128
	global_load_dword v5, v[5:6], off offset:1128
	v_lshl_add_u32 v4, v4, 2, v18
	ds_write_b16 v1, v21 offset:1154
	ds_write_b32 v17, v20
	ds_write_b16 v1, v19 offset:1152
	ds_read_b32 v6, v4
	ds_read_b32 v8, v1 offset:1056
	s_waitcnt lgkmcnt(0)
	v_pk_add_f16 v10, v6, v8 neg_lo:[0,1] neg_hi:[0,1]
	v_pk_add_f16 v6, v6, v8
	v_bfi_b32 v8, 0xffff, v10, v6
	v_bfi_b32 v6, 0xffff, v6, v10
	v_pk_mul_f16 v8, v8, 0.5 op_sel_hi:[1,0]
	v_pk_mul_f16 v6, v6, 0.5 op_sel_hi:[1,0]
	s_waitcnt vmcnt(4)
	v_pk_fma_f16 v10, v13, v8, v6 op_sel:[1,0,0]
	v_pk_mul_f16 v12, v13, v8 op_sel_hi:[0,1]
	v_pk_fma_f16 v14, v13, v8, v6 op_sel:[1,0,0] neg_lo:[1,0,0] neg_hi:[1,0,0]
	v_pk_fma_f16 v6, v13, v8, v6 op_sel:[1,0,0] neg_lo:[0,0,1] neg_hi:[0,0,1]
	v_pk_add_f16 v8, v10, v12 op_sel:[0,1] op_sel_hi:[1,0]
	v_pk_add_f16 v10, v10, v12 op_sel:[0,1] op_sel_hi:[1,0] neg_lo:[0,1] neg_hi:[0,1]
	v_pk_add_f16 v13, v14, v12 op_sel:[0,1] op_sel_hi:[1,0] neg_lo:[0,1] neg_hi:[0,1]
	v_pk_add_f16 v6, v6, v12 op_sel:[0,1] op_sel_hi:[1,0] neg_lo:[0,1] neg_hi:[0,1]
	v_bfi_b32 v8, 0xffff, v8, v10
	v_bfi_b32 v6, 0xffff, v13, v6
	ds_write_b32 v4, v8
	ds_write_b32 v1, v6 offset:1056
	ds_read_b32 v4, v25
	ds_read_b32 v6, v1 offset:960
	s_waitcnt lgkmcnt(0)
	v_pk_add_f16 v8, v4, v6 neg_lo:[0,1] neg_hi:[0,1]
	v_pk_add_f16 v4, v4, v6
	v_bfi_b32 v6, 0xffff, v8, v4
	v_bfi_b32 v4, 0xffff, v4, v8
	v_pk_mul_f16 v6, v6, 0.5 op_sel_hi:[1,0]
	v_pk_mul_f16 v4, v4, 0.5 op_sel_hi:[1,0]
	s_waitcnt vmcnt(3)
	v_pk_mul_f16 v10, v11, v6 op_sel_hi:[0,1]
	v_pk_fma_f16 v8, v11, v6, v4 op_sel:[1,0,0]
	v_pk_fma_f16 v12, v11, v6, v4 op_sel:[1,0,0] neg_lo:[1,0,0] neg_hi:[1,0,0]
	v_pk_fma_f16 v4, v11, v6, v4 op_sel:[1,0,0] neg_lo:[0,0,1] neg_hi:[0,0,1]
	v_pk_add_f16 v6, v8, v10 op_sel:[0,1] op_sel_hi:[1,0]
	v_pk_add_f16 v8, v8, v10 op_sel:[0,1] op_sel_hi:[1,0] neg_lo:[0,1] neg_hi:[0,1]
	v_pk_add_f16 v11, v12, v10 op_sel:[0,1] op_sel_hi:[1,0] neg_lo:[0,1] neg_hi:[0,1]
	v_pk_add_f16 v4, v4, v10 op_sel:[0,1] op_sel_hi:[1,0] neg_lo:[0,1] neg_hi:[0,1]
	v_bfi_b32 v6, 0xffff, v6, v8
	v_bfi_b32 v4, 0xffff, v11, v4
	ds_write_b32 v25, v6
	ds_write_b32 v1, v4 offset:960
	ds_read_b32 v4, v24
	ds_read_b32 v6, v1 offset:864
	s_waitcnt lgkmcnt(0)
	v_pk_add_f16 v8, v4, v6 neg_lo:[0,1] neg_hi:[0,1]
	v_pk_add_f16 v4, v4, v6
	v_bfi_b32 v6, 0xffff, v8, v4
	v_bfi_b32 v4, 0xffff, v4, v8
	v_pk_mul_f16 v6, v6, 0.5 op_sel_hi:[1,0]
	v_pk_mul_f16 v4, v4, 0.5 op_sel_hi:[1,0]
	s_waitcnt vmcnt(2)
	v_pk_mul_f16 v10, v9, v6 op_sel_hi:[0,1]
	v_pk_fma_f16 v8, v9, v6, v4 op_sel:[1,0,0]
	;; [unrolled: 22-line block ×4, first 2 shown]
	v_pk_fma_f16 v9, v5, v6, v4 op_sel:[1,0,0] neg_lo:[1,0,0] neg_hi:[1,0,0]
	v_pk_fma_f16 v4, v5, v6, v4 op_sel:[1,0,0] neg_lo:[0,0,1] neg_hi:[0,0,1]
	v_pk_add_f16 v5, v7, v8 op_sel:[0,1] op_sel_hi:[1,0]
	v_pk_add_f16 v6, v7, v8 op_sel:[0,1] op_sel_hi:[1,0] neg_lo:[0,1] neg_hi:[0,1]
	v_pk_add_f16 v7, v9, v8 op_sel:[0,1] op_sel_hi:[1,0] neg_lo:[0,1] neg_hi:[0,1]
	;; [unrolled: 1-line block ×3, first 2 shown]
	v_bfi_b32 v5, 0xffff, v5, v6
	v_bfi_b32 v4, 0xffff, v7, v4
	ds_write_b32 v22, v5
	ds_write_b32 v1, v4 offset:672
	s_waitcnt lgkmcnt(0)
	s_barrier
	buffer_gl0_inv
	s_and_saveexec_b32 s0, vcc_lo
	s_cbranch_execz .LBB0_19
; %bb.17:
	v_add_nc_u32_e32 v16, 0x200, v17
	ds_read2_b32 v[4:5], v17 offset1:24
	ds_read2_b32 v[6:7], v17 offset0:48 offset1:72
	ds_read2_b32 v[8:9], v17 offset0:96 offset1:120
	;; [unrolled: 1-line block ×4, first 2 shown]
	v_mov_b32_e32 v1, 0
	ds_read2_b32 v[18:19], v16 offset0:112 offset1:136
	v_lshlrev_b64 v[12:13], 2, v[0:1]
	v_add_co_u32 v1, vcc_lo, s2, v2
	v_add_co_ci_u32_e32 v2, vcc_lo, s3, v3, vcc_lo
	v_add_co_u32 v12, vcc_lo, v1, v12
	v_add_co_ci_u32_e32 v13, vcc_lo, v2, v13, vcc_lo
	v_cmp_eq_u32_e32 vcc_lo, 23, v0
	s_waitcnt lgkmcnt(5)
	global_store_dword v[12:13], v4, off
	global_store_dword v[12:13], v5, off offset:96
	s_waitcnt lgkmcnt(4)
	global_store_dword v[12:13], v6, off offset:192
	global_store_dword v[12:13], v7, off offset:288
	s_waitcnt lgkmcnt(3)
	global_store_dword v[12:13], v8, off offset:384
	;; [unrolled: 3-line block ×5, first 2 shown]
	global_store_dword v[12:13], v19, off offset:1056
	s_and_b32 exec_lo, exec_lo, vcc_lo
	s_cbranch_execz .LBB0_19
; %bb.18:
	ds_read_b32 v0, v17 offset:1060
	s_waitcnt lgkmcnt(0)
	global_store_dword v[1:2], v0, off offset:1152
.LBB0_19:
	s_endpgm
	.section	.rodata,"a",@progbits
	.p2align	6, 0x0
	.amdhsa_kernel fft_rtc_back_len288_factors_6_6_4_2_wgs_120_tpt_24_halfLds_half_ip_CI_unitstride_sbrr_R2C_dirReg
		.amdhsa_group_segment_fixed_size 0
		.amdhsa_private_segment_fixed_size 0
		.amdhsa_kernarg_size 88
		.amdhsa_user_sgpr_count 6
		.amdhsa_user_sgpr_private_segment_buffer 1
		.amdhsa_user_sgpr_dispatch_ptr 0
		.amdhsa_user_sgpr_queue_ptr 0
		.amdhsa_user_sgpr_kernarg_segment_ptr 1
		.amdhsa_user_sgpr_dispatch_id 0
		.amdhsa_user_sgpr_flat_scratch_init 0
		.amdhsa_user_sgpr_private_segment_size 0
		.amdhsa_wavefront_size32 1
		.amdhsa_uses_dynamic_stack 0
		.amdhsa_system_sgpr_private_segment_wavefront_offset 0
		.amdhsa_system_sgpr_workgroup_id_x 1
		.amdhsa_system_sgpr_workgroup_id_y 0
		.amdhsa_system_sgpr_workgroup_id_z 0
		.amdhsa_system_sgpr_workgroup_info 0
		.amdhsa_system_vgpr_workitem_id 0
		.amdhsa_next_free_vgpr 62
		.amdhsa_next_free_sgpr 21
		.amdhsa_reserve_vcc 1
		.amdhsa_reserve_flat_scratch 0
		.amdhsa_float_round_mode_32 0
		.amdhsa_float_round_mode_16_64 0
		.amdhsa_float_denorm_mode_32 3
		.amdhsa_float_denorm_mode_16_64 3
		.amdhsa_dx10_clamp 1
		.amdhsa_ieee_mode 1
		.amdhsa_fp16_overflow 0
		.amdhsa_workgroup_processor_mode 1
		.amdhsa_memory_ordered 1
		.amdhsa_forward_progress 0
		.amdhsa_shared_vgpr_count 0
		.amdhsa_exception_fp_ieee_invalid_op 0
		.amdhsa_exception_fp_denorm_src 0
		.amdhsa_exception_fp_ieee_div_zero 0
		.amdhsa_exception_fp_ieee_overflow 0
		.amdhsa_exception_fp_ieee_underflow 0
		.amdhsa_exception_fp_ieee_inexact 0
		.amdhsa_exception_int_div_zero 0
	.end_amdhsa_kernel
	.text
.Lfunc_end0:
	.size	fft_rtc_back_len288_factors_6_6_4_2_wgs_120_tpt_24_halfLds_half_ip_CI_unitstride_sbrr_R2C_dirReg, .Lfunc_end0-fft_rtc_back_len288_factors_6_6_4_2_wgs_120_tpt_24_halfLds_half_ip_CI_unitstride_sbrr_R2C_dirReg
                                        ; -- End function
	.section	.AMDGPU.csdata,"",@progbits
; Kernel info:
; codeLenInByte = 6872
; NumSgprs: 23
; NumVgprs: 62
; ScratchSize: 0
; MemoryBound: 0
; FloatMode: 240
; IeeeMode: 1
; LDSByteSize: 0 bytes/workgroup (compile time only)
; SGPRBlocks: 2
; VGPRBlocks: 7
; NumSGPRsForWavesPerEU: 23
; NumVGPRsForWavesPerEU: 62
; Occupancy: 16
; WaveLimiterHint : 1
; COMPUTE_PGM_RSRC2:SCRATCH_EN: 0
; COMPUTE_PGM_RSRC2:USER_SGPR: 6
; COMPUTE_PGM_RSRC2:TRAP_HANDLER: 0
; COMPUTE_PGM_RSRC2:TGID_X_EN: 1
; COMPUTE_PGM_RSRC2:TGID_Y_EN: 0
; COMPUTE_PGM_RSRC2:TGID_Z_EN: 0
; COMPUTE_PGM_RSRC2:TIDIG_COMP_CNT: 0
	.text
	.p2alignl 6, 3214868480
	.fill 48, 4, 3214868480
	.type	__hip_cuid_a8b0b1f57623fea3,@object ; @__hip_cuid_a8b0b1f57623fea3
	.section	.bss,"aw",@nobits
	.globl	__hip_cuid_a8b0b1f57623fea3
__hip_cuid_a8b0b1f57623fea3:
	.byte	0                               ; 0x0
	.size	__hip_cuid_a8b0b1f57623fea3, 1

	.ident	"AMD clang version 19.0.0git (https://github.com/RadeonOpenCompute/llvm-project roc-6.4.0 25133 c7fe45cf4b819c5991fe208aaa96edf142730f1d)"
	.section	".note.GNU-stack","",@progbits
	.addrsig
	.addrsig_sym __hip_cuid_a8b0b1f57623fea3
	.amdgpu_metadata
---
amdhsa.kernels:
  - .args:
      - .actual_access:  read_only
        .address_space:  global
        .offset:         0
        .size:           8
        .value_kind:     global_buffer
      - .offset:         8
        .size:           8
        .value_kind:     by_value
      - .actual_access:  read_only
        .address_space:  global
        .offset:         16
        .size:           8
        .value_kind:     global_buffer
      - .actual_access:  read_only
        .address_space:  global
        .offset:         24
        .size:           8
        .value_kind:     global_buffer
      - .offset:         32
        .size:           8
        .value_kind:     by_value
      - .actual_access:  read_only
        .address_space:  global
        .offset:         40
        .size:           8
        .value_kind:     global_buffer
      - .actual_access:  read_only
        .address_space:  global
        .offset:         48
        .size:           8
        .value_kind:     global_buffer
      - .offset:         56
        .size:           4
        .value_kind:     by_value
      - .actual_access:  read_only
        .address_space:  global
        .offset:         64
        .size:           8
        .value_kind:     global_buffer
      - .actual_access:  read_only
        .address_space:  global
        .offset:         72
        .size:           8
        .value_kind:     global_buffer
      - .address_space:  global
        .offset:         80
        .size:           8
        .value_kind:     global_buffer
    .group_segment_fixed_size: 0
    .kernarg_segment_align: 8
    .kernarg_segment_size: 88
    .language:       OpenCL C
    .language_version:
      - 2
      - 0
    .max_flat_workgroup_size: 120
    .name:           fft_rtc_back_len288_factors_6_6_4_2_wgs_120_tpt_24_halfLds_half_ip_CI_unitstride_sbrr_R2C_dirReg
    .private_segment_fixed_size: 0
    .sgpr_count:     23
    .sgpr_spill_count: 0
    .symbol:         fft_rtc_back_len288_factors_6_6_4_2_wgs_120_tpt_24_halfLds_half_ip_CI_unitstride_sbrr_R2C_dirReg.kd
    .uniform_work_group_size: 1
    .uses_dynamic_stack: false
    .vgpr_count:     62
    .vgpr_spill_count: 0
    .wavefront_size: 32
    .workgroup_processor_mode: 1
amdhsa.target:   amdgcn-amd-amdhsa--gfx1030
amdhsa.version:
  - 1
  - 2
...

	.end_amdgpu_metadata
